;; amdgpu-corpus repo=ROCm/rocFFT kind=compiled arch=gfx1030 opt=O3
	.text
	.amdgcn_target "amdgcn-amd-amdhsa--gfx1030"
	.amdhsa_code_object_version 6
	.protected	fft_rtc_fwd_len900_factors_10_10_3_3_wgs_180_tpt_90_halfLds_dp_ip_CI_unitstride_sbrr_dirReg ; -- Begin function fft_rtc_fwd_len900_factors_10_10_3_3_wgs_180_tpt_90_halfLds_dp_ip_CI_unitstride_sbrr_dirReg
	.globl	fft_rtc_fwd_len900_factors_10_10_3_3_wgs_180_tpt_90_halfLds_dp_ip_CI_unitstride_sbrr_dirReg
	.p2align	8
	.type	fft_rtc_fwd_len900_factors_10_10_3_3_wgs_180_tpt_90_halfLds_dp_ip_CI_unitstride_sbrr_dirReg,@function
fft_rtc_fwd_len900_factors_10_10_3_3_wgs_180_tpt_90_halfLds_dp_ip_CI_unitstride_sbrr_dirReg: ; @fft_rtc_fwd_len900_factors_10_10_3_3_wgs_180_tpt_90_halfLds_dp_ip_CI_unitstride_sbrr_dirReg
; %bb.0:
	s_clause 0x2
	s_load_dwordx4 s[8:11], s[4:5], 0x0
	s_load_dwordx2 s[2:3], s[4:5], 0x50
	s_load_dwordx2 s[12:13], s[4:5], 0x18
	v_mul_u32_u24_e32 v1, 0x2d9, v0
	v_mov_b32_e32 v3, 0
	v_lshrrev_b32_e32 v44, 16, v1
	v_mov_b32_e32 v1, 0
	v_mov_b32_e32 v6, v3
	v_mov_b32_e32 v2, 0
	v_lshl_add_u32 v5, s6, 1, v44
	s_waitcnt lgkmcnt(0)
	v_cmp_lt_u64_e64 s0, s[10:11], 2
	s_and_b32 vcc_lo, exec_lo, s0
	s_cbranch_vccnz .LBB0_8
; %bb.1:
	s_load_dwordx2 s[0:1], s[4:5], 0x10
	v_mov_b32_e32 v1, 0
	s_add_u32 s6, s12, 8
	v_mov_b32_e32 v2, 0
	s_addc_u32 s7, s13, 0
	s_mov_b64 s[16:17], 1
	s_waitcnt lgkmcnt(0)
	s_add_u32 s14, s0, 8
	s_addc_u32 s15, s1, 0
.LBB0_2:                                ; =>This Inner Loop Header: Depth=1
	s_load_dwordx2 s[18:19], s[14:15], 0x0
                                        ; implicit-def: $vgpr7_vgpr8
	s_mov_b32 s0, exec_lo
	s_waitcnt lgkmcnt(0)
	v_or_b32_e32 v4, s19, v6
	v_cmpx_ne_u64_e32 0, v[3:4]
	s_xor_b32 s1, exec_lo, s0
	s_cbranch_execz .LBB0_4
; %bb.3:                                ;   in Loop: Header=BB0_2 Depth=1
	v_cvt_f32_u32_e32 v4, s18
	v_cvt_f32_u32_e32 v7, s19
	s_sub_u32 s0, 0, s18
	s_subb_u32 s20, 0, s19
	v_fmac_f32_e32 v4, 0x4f800000, v7
	v_rcp_f32_e32 v4, v4
	v_mul_f32_e32 v4, 0x5f7ffffc, v4
	v_mul_f32_e32 v7, 0x2f800000, v4
	v_trunc_f32_e32 v7, v7
	v_fmac_f32_e32 v4, 0xcf800000, v7
	v_cvt_u32_f32_e32 v7, v7
	v_cvt_u32_f32_e32 v4, v4
	v_mul_lo_u32 v8, s0, v7
	v_mul_hi_u32 v9, s0, v4
	v_mul_lo_u32 v10, s20, v4
	v_add_nc_u32_e32 v8, v9, v8
	v_mul_lo_u32 v9, s0, v4
	v_add_nc_u32_e32 v8, v8, v10
	v_mul_hi_u32 v10, v4, v9
	v_mul_lo_u32 v11, v4, v8
	v_mul_hi_u32 v12, v4, v8
	v_mul_hi_u32 v13, v7, v9
	v_mul_lo_u32 v9, v7, v9
	v_mul_hi_u32 v14, v7, v8
	v_mul_lo_u32 v8, v7, v8
	v_add_co_u32 v10, vcc_lo, v10, v11
	v_add_co_ci_u32_e32 v11, vcc_lo, 0, v12, vcc_lo
	v_add_co_u32 v9, vcc_lo, v10, v9
	v_add_co_ci_u32_e32 v9, vcc_lo, v11, v13, vcc_lo
	v_add_co_ci_u32_e32 v10, vcc_lo, 0, v14, vcc_lo
	v_add_co_u32 v8, vcc_lo, v9, v8
	v_add_co_ci_u32_e32 v9, vcc_lo, 0, v10, vcc_lo
	v_add_co_u32 v4, vcc_lo, v4, v8
	v_add_co_ci_u32_e32 v7, vcc_lo, v7, v9, vcc_lo
	v_mul_hi_u32 v8, s0, v4
	v_mul_lo_u32 v10, s20, v4
	v_mul_lo_u32 v9, s0, v7
	v_add_nc_u32_e32 v8, v8, v9
	v_mul_lo_u32 v9, s0, v4
	v_add_nc_u32_e32 v8, v8, v10
	v_mul_hi_u32 v10, v4, v9
	v_mul_lo_u32 v11, v4, v8
	v_mul_hi_u32 v12, v4, v8
	v_mul_hi_u32 v13, v7, v9
	v_mul_lo_u32 v9, v7, v9
	v_mul_hi_u32 v14, v7, v8
	v_mul_lo_u32 v8, v7, v8
	v_add_co_u32 v10, vcc_lo, v10, v11
	v_add_co_ci_u32_e32 v11, vcc_lo, 0, v12, vcc_lo
	v_add_co_u32 v9, vcc_lo, v10, v9
	v_add_co_ci_u32_e32 v9, vcc_lo, v11, v13, vcc_lo
	v_add_co_ci_u32_e32 v10, vcc_lo, 0, v14, vcc_lo
	v_add_co_u32 v8, vcc_lo, v9, v8
	v_add_co_ci_u32_e32 v9, vcc_lo, 0, v10, vcc_lo
	v_add_co_u32 v4, vcc_lo, v4, v8
	v_add_co_ci_u32_e32 v11, vcc_lo, v7, v9, vcc_lo
	v_mul_hi_u32 v13, v5, v4
	v_mad_u64_u32 v[9:10], null, v6, v4, 0
	v_mad_u64_u32 v[7:8], null, v5, v11, 0
	;; [unrolled: 1-line block ×3, first 2 shown]
	v_add_co_u32 v4, vcc_lo, v13, v7
	v_add_co_ci_u32_e32 v7, vcc_lo, 0, v8, vcc_lo
	v_add_co_u32 v4, vcc_lo, v4, v9
	v_add_co_ci_u32_e32 v4, vcc_lo, v7, v10, vcc_lo
	v_add_co_ci_u32_e32 v7, vcc_lo, 0, v12, vcc_lo
	v_add_co_u32 v4, vcc_lo, v4, v11
	v_add_co_ci_u32_e32 v9, vcc_lo, 0, v7, vcc_lo
	v_mul_lo_u32 v10, s19, v4
	v_mad_u64_u32 v[7:8], null, s18, v4, 0
	v_mul_lo_u32 v11, s18, v9
	v_sub_co_u32 v7, vcc_lo, v5, v7
	v_add3_u32 v8, v8, v11, v10
	v_sub_nc_u32_e32 v10, v6, v8
	v_subrev_co_ci_u32_e64 v10, s0, s19, v10, vcc_lo
	v_add_co_u32 v11, s0, v4, 2
	v_add_co_ci_u32_e64 v12, s0, 0, v9, s0
	v_sub_co_u32 v13, s0, v7, s18
	v_sub_co_ci_u32_e32 v8, vcc_lo, v6, v8, vcc_lo
	v_subrev_co_ci_u32_e64 v10, s0, 0, v10, s0
	v_cmp_le_u32_e32 vcc_lo, s18, v13
	v_cmp_eq_u32_e64 s0, s19, v8
	v_cndmask_b32_e64 v13, 0, -1, vcc_lo
	v_cmp_le_u32_e32 vcc_lo, s19, v10
	v_cndmask_b32_e64 v14, 0, -1, vcc_lo
	v_cmp_le_u32_e32 vcc_lo, s18, v7
	;; [unrolled: 2-line block ×3, first 2 shown]
	v_cndmask_b32_e64 v15, 0, -1, vcc_lo
	v_cmp_eq_u32_e32 vcc_lo, s19, v10
	v_cndmask_b32_e64 v7, v15, v7, s0
	v_cndmask_b32_e32 v10, v14, v13, vcc_lo
	v_add_co_u32 v13, vcc_lo, v4, 1
	v_add_co_ci_u32_e32 v14, vcc_lo, 0, v9, vcc_lo
	v_cmp_ne_u32_e32 vcc_lo, 0, v10
	v_cndmask_b32_e32 v8, v14, v12, vcc_lo
	v_cndmask_b32_e32 v10, v13, v11, vcc_lo
	v_cmp_ne_u32_e32 vcc_lo, 0, v7
	v_cndmask_b32_e32 v8, v9, v8, vcc_lo
	v_cndmask_b32_e32 v7, v4, v10, vcc_lo
.LBB0_4:                                ;   in Loop: Header=BB0_2 Depth=1
	s_andn2_saveexec_b32 s0, s1
	s_cbranch_execz .LBB0_6
; %bb.5:                                ;   in Loop: Header=BB0_2 Depth=1
	v_cvt_f32_u32_e32 v4, s18
	s_sub_i32 s1, 0, s18
	v_rcp_iflag_f32_e32 v4, v4
	v_mul_f32_e32 v4, 0x4f7ffffe, v4
	v_cvt_u32_f32_e32 v4, v4
	v_mul_lo_u32 v7, s1, v4
	v_mul_hi_u32 v7, v4, v7
	v_add_nc_u32_e32 v4, v4, v7
	v_mul_hi_u32 v4, v5, v4
	v_mul_lo_u32 v7, v4, s18
	v_add_nc_u32_e32 v8, 1, v4
	v_sub_nc_u32_e32 v7, v5, v7
	v_subrev_nc_u32_e32 v9, s18, v7
	v_cmp_le_u32_e32 vcc_lo, s18, v7
	v_cndmask_b32_e32 v7, v7, v9, vcc_lo
	v_cndmask_b32_e32 v4, v4, v8, vcc_lo
	v_cmp_le_u32_e32 vcc_lo, s18, v7
	v_add_nc_u32_e32 v8, 1, v4
	v_cndmask_b32_e32 v7, v4, v8, vcc_lo
	v_mov_b32_e32 v8, v3
.LBB0_6:                                ;   in Loop: Header=BB0_2 Depth=1
	s_or_b32 exec_lo, exec_lo, s0
	s_load_dwordx2 s[0:1], s[6:7], 0x0
	v_mul_lo_u32 v4, v8, s18
	v_mul_lo_u32 v11, v7, s19
	v_mad_u64_u32 v[9:10], null, v7, s18, 0
	s_add_u32 s16, s16, 1
	s_addc_u32 s17, s17, 0
	s_add_u32 s6, s6, 8
	s_addc_u32 s7, s7, 0
	;; [unrolled: 2-line block ×3, first 2 shown]
	v_add3_u32 v4, v10, v11, v4
	v_sub_co_u32 v5, vcc_lo, v5, v9
	v_sub_co_ci_u32_e32 v4, vcc_lo, v6, v4, vcc_lo
	s_waitcnt lgkmcnt(0)
	v_mul_lo_u32 v6, s1, v5
	v_mul_lo_u32 v4, s0, v4
	v_mad_u64_u32 v[1:2], null, s0, v5, v[1:2]
	v_cmp_ge_u64_e64 s0, s[16:17], s[10:11]
	s_and_b32 vcc_lo, exec_lo, s0
	v_add3_u32 v2, v6, v2, v4
	s_cbranch_vccnz .LBB0_9
; %bb.7:                                ;   in Loop: Header=BB0_2 Depth=1
	v_mov_b32_e32 v5, v7
	v_mov_b32_e32 v6, v8
	s_branch .LBB0_2
.LBB0_8:
	v_mov_b32_e32 v8, v6
	v_mov_b32_e32 v7, v5
.LBB0_9:
	s_lshl_b64 s[0:1], s[10:11], 3
	v_mul_hi_u32 v5, 0x2d82d83, v0
	s_add_u32 s0, s12, s0
	s_addc_u32 s1, s13, s1
                                        ; implicit-def: $vgpr10_vgpr11
                                        ; implicit-def: $vgpr14_vgpr15
                                        ; implicit-def: $vgpr18_vgpr19
                                        ; implicit-def: $vgpr22_vgpr23
                                        ; implicit-def: $vgpr26_vgpr27
                                        ; implicit-def: $vgpr38_vgpr39
                                        ; implicit-def: $vgpr34_vgpr35
                                        ; implicit-def: $vgpr30_vgpr31
	s_load_dwordx2 s[0:1], s[0:1], 0x0
	s_load_dwordx2 s[4:5], s[4:5], 0x20
	s_waitcnt lgkmcnt(0)
	v_mul_lo_u32 v3, s0, v8
	v_mul_lo_u32 v4, s1, v7
	v_mad_u64_u32 v[1:2], null, s0, v7, v[1:2]
	v_cmp_gt_u64_e32 vcc_lo, s[4:5], v[7:8]
                                        ; implicit-def: $vgpr6_vgpr7
	v_add3_u32 v2, v4, v2, v3
	v_mul_u32_u24_e32 v3, 0x5a, v5
	v_lshlrev_b64 v[42:43], 4, v[1:2]
	v_sub_nc_u32_e32 v40, v0, v3
                                        ; implicit-def: $vgpr2_vgpr3
	s_and_saveexec_b32 s1, vcc_lo
	s_cbranch_execz .LBB0_11
; %bb.10:
	v_mov_b32_e32 v41, 0
	v_add_co_u32 v2, s0, s2, v42
	v_add_co_ci_u32_e64 v3, s0, s3, v43, s0
	v_lshlrev_b64 v[0:1], 4, v[40:41]
	v_add_co_u32 v0, s0, v2, v0
	v_add_co_ci_u32_e64 v1, s0, v3, v1, s0
	v_add_co_u32 v2, s0, 0x800, v0
	v_add_co_ci_u32_e64 v3, s0, 0, v1, s0
	;; [unrolled: 2-line block ×3, first 2 shown]
	s_clause 0x3
	global_load_dwordx4 v[28:31], v[0:1], off
	global_load_dwordx4 v[32:35], v[0:1], off offset:1440
	global_load_dwordx4 v[36:39], v[2:3], off offset:832
	;; [unrolled: 1-line block ×3, first 2 shown]
	v_add_co_u32 v2, s0, 0x1800, v0
	v_add_co_ci_u32_e64 v3, s0, 0, v1, s0
	v_add_co_u32 v6, s0, 0x2000, v0
	v_add_co_ci_u32_e64 v7, s0, 0, v1, s0
	;; [unrolled: 2-line block ×4, first 2 shown]
	s_clause 0x5
	global_load_dwordx4 v[20:23], v[4:5], off offset:1664
	global_load_dwordx4 v[16:19], v[2:3], off offset:1056
	;; [unrolled: 1-line block ×6, first 2 shown]
.LBB0_11:
	s_or_b32 exec_lo, exec_lo, s1
	s_waitcnt vmcnt(2)
	v_add_f64 v[45:46], v[8:9], v[16:17]
	s_waitcnt vmcnt(0)
	v_add_f64 v[47:48], v[4:5], v[24:25]
	v_add_f64 v[51:52], v[10:11], v[18:19]
	;; [unrolled: 1-line block ×5, first 2 shown]
	v_add_f64 v[71:72], v[26:27], -v[6:7]
	v_add_f64 v[55:56], v[14:15], v[22:23]
	v_add_f64 v[57:58], v[2:3], v[38:39]
	v_add_f64 v[75:76], v[18:19], -v[10:11]
	s_mov_b32 s6, 0x134454ff
	s_mov_b32 s7, 0x3fee6f0e
	;; [unrolled: 1-line block ×4, first 2 shown]
	v_add_f64 v[77:78], v[26:27], v[34:35]
	v_add_f64 v[79:80], v[24:25], -v[16:17]
	v_add_f64 v[83:84], v[24:25], -v[4:5]
	;; [unrolled: 1-line block ×4, first 2 shown]
	v_add_f64 v[59:60], v[36:37], v[28:29]
	v_add_f64 v[81:82], v[4:5], -v[8:9]
	v_add_f64 v[61:62], v[38:39], v[30:31]
	v_fma_f64 v[45:46], v[45:46], -0.5, v[32:33]
	v_fma_f64 v[47:48], v[47:48], -0.5, v[32:33]
	v_add_f64 v[32:33], v[24:25], v[32:33]
	v_fma_f64 v[51:52], v[51:52], -0.5, v[34:35]
	v_add_f64 v[24:25], v[16:17], -v[24:25]
	v_fma_f64 v[34:35], v[65:66], -0.5, v[34:35]
	v_fma_f64 v[49:50], v[49:50], -0.5, v[28:29]
	;; [unrolled: 1-line block ×5, first 2 shown]
	s_mov_b32 s12, 0x4755a5e
	s_mov_b32 s13, 0x3fe2cf23
	;; [unrolled: 1-line block ×4, first 2 shown]
	v_add_f64 v[63:64], v[38:39], -v[2:3]
	v_add_f64 v[65:66], v[26:27], -v[18:19]
	v_add_f64 v[89:90], v[6:7], -v[10:11]
	v_add_f64 v[26:27], v[18:19], -v[26:27]
	v_add_f64 v[91:92], v[10:11], -v[6:7]
	s_mov_b32 s14, 0x372fe950
	v_add_f64 v[79:80], v[81:82], v[79:80]
	v_add_f64 v[67:68], v[36:37], -v[20:21]
	v_fma_f64 v[53:54], v[71:72], s[6:7], v[45:46]
	v_fma_f64 v[45:46], v[71:72], s[4:5], v[45:46]
	;; [unrolled: 1-line block ×4, first 2 shown]
	v_add_f64 v[24:25], v[85:86], v[24:25]
	v_fma_f64 v[85:86], v[87:88], s[6:7], v[34:35]
	v_fma_f64 v[34:35], v[87:88], s[4:5], v[34:35]
	;; [unrolled: 1-line block ×4, first 2 shown]
	v_add_f64 v[69:70], v[20:21], -v[36:37]
	v_add_f64 v[36:37], v[36:37], -v[0:1]
	s_mov_b32 s15, 0x3fd3c6ef
	v_add_f64 v[16:17], v[16:17], v[32:33]
	s_mov_b32 s16, 0x9b97f4a8
	v_add_f64 v[73:74], v[38:39], -v[22:23]
	v_add_f64 v[38:39], v[22:23], -v[38:39]
	v_add_f64 v[65:66], v[89:90], v[65:66]
	v_add_f64 v[89:90], v[0:1], -v[12:13]
	v_add_f64 v[26:27], v[91:92], v[26:27]
	v_add_f64 v[91:92], v[12:13], -v[0:1]
	s_mov_b32 s17, 0x3fe9e377
	v_add_f64 v[18:19], v[18:19], v[77:78]
	v_fma_f64 v[53:54], v[75:76], s[12:13], v[53:54]
	v_fma_f64 v[45:46], v[75:76], s[10:11], v[45:46]
	v_add_f64 v[75:76], v[22:23], -v[14:15]
	v_fma_f64 v[57:58], v[71:72], s[12:13], v[57:58]
	v_fma_f64 v[47:48], v[71:72], s[10:11], v[47:48]
	v_add_f64 v[71:72], v[20:21], -v[12:13]
	v_add_f64 v[20:21], v[20:21], v[59:60]
	v_fma_f64 v[34:35], v[83:84], s[12:13], v[34:35]
	v_fma_f64 v[59:60], v[63:64], s[6:7], v[49:50]
	;; [unrolled: 1-line block ×6, first 2 shown]
	v_add_f64 v[87:88], v[2:3], -v[14:15]
	v_add_f64 v[22:23], v[22:23], v[61:62]
	v_add_f64 v[8:9], v[8:9], v[16:17]
	v_and_b32_e32 v41, 1, v44
	v_add_f64 v[61:62], v[89:90], v[67:68]
	v_add_f64 v[67:68], v[91:92], v[69:70]
	;; [unrolled: 1-line block ×3, first 2 shown]
	v_fma_f64 v[53:54], v[79:80], s[14:15], v[53:54]
	v_fma_f64 v[45:46], v[79:80], s[14:15], v[45:46]
	;; [unrolled: 1-line block ×6, first 2 shown]
	v_add_f64 v[12:13], v[12:13], v[20:21]
	v_fma_f64 v[20:21], v[36:37], s[4:5], v[55:56]
	v_add_f64 v[47:48], v[14:15], -v[2:3]
	v_fma_f64 v[69:70], v[71:72], s[6:7], v[30:31]
	v_fma_f64 v[30:31], v[71:72], s[4:5], v[30:31]
	;; [unrolled: 1-line block ×8, first 2 shown]
	v_add_f64 v[73:74], v[87:88], v[73:74]
	v_add_f64 v[14:15], v[14:15], v[22:23]
	;; [unrolled: 1-line block ×3, first 2 shown]
	v_cmp_eq_u32_e64 s0, 1, v41
	v_mul_f64 v[32:33], v[53:54], s[16:17]
	v_mul_f64 v[77:78], v[45:46], s[16:17]
	v_fma_f64 v[59:60], v[63:64], s[12:13], v[79:80]
	v_fma_f64 v[28:29], v[63:64], s[10:11], v[28:29]
	;; [unrolled: 1-line block ×3, first 2 shown]
	v_mul_f64 v[65:66], v[57:58], s[14:15]
	v_mul_f64 v[75:76], v[24:25], s[14:15]
	v_add_f64 v[12:13], v[0:1], v[12:13]
	v_fma_f64 v[0:1], v[71:72], s[10:11], v[20:21]
	v_mul_f64 v[8:9], v[53:54], s[10:11]
	v_add_f64 v[38:39], v[47:48], v[38:39]
	v_fma_f64 v[20:21], v[36:37], s[10:11], v[69:70]
	v_fma_f64 v[22:23], v[36:37], s[12:13], v[30:31]
	;; [unrolled: 1-line block ×3, first 2 shown]
	v_mul_f64 v[47:48], v[57:58], s[4:5]
	v_mul_f64 v[49:50], v[34:35], s[14:15]
	v_fma_f64 v[18:19], v[71:72], s[12:13], v[55:56]
	v_fma_f64 v[16:17], v[61:62], s[14:15], v[16:17]
	v_mul_f64 v[53:54], v[51:52], s[16:17]
	v_add_f64 v[57:58], v[2:3], v[14:15]
	v_cndmask_b32_e64 v41, 0, 0x384, s0
	v_mul_u32_u24_e32 v69, 10, v40
	v_cmp_gt_u32_e64 s0, 30, v40
	v_fma_f64 v[51:52], v[51:52], s[12:13], -v[77:78]
	v_fma_f64 v[36:37], v[67:68], s[14:15], v[59:60]
	v_fma_f64 v[28:29], v[67:68], s[14:15], v[28:29]
	v_fma_f64 v[32:33], v[63:64], s[12:13], v[32:33]
	v_fma_f64 v[55:56], v[26:27], s[6:7], v[65:66]
	v_fma_f64 v[34:35], v[34:35], s[6:7], -v[75:76]
	v_add_f64 v[59:60], v[6:7], v[10:11]
	v_fma_f64 v[61:62], v[73:74], s[14:15], v[0:1]
	v_fma_f64 v[63:64], v[63:64], s[16:17], v[8:9]
	v_add_f64 v[0:1], v[4:5], v[12:13]
	v_fma_f64 v[67:68], v[38:39], s[14:15], v[20:21]
	v_fma_f64 v[38:39], v[38:39], s[14:15], v[22:23]
	v_add_f64 v[6:7], v[12:13], -v[4:5]
	v_fma_f64 v[47:48], v[26:27], s[14:15], v[47:48]
	v_fma_f64 v[49:50], v[24:25], s[4:5], -v[49:50]
	v_fma_f64 v[65:66], v[73:74], s[14:15], v[18:19]
	v_lshlrev_b32_e32 v41, 3, v41
	v_fma_f64 v[44:45], v[45:46], s[10:11], -v[53:54]
	v_and_b32_e32 v20, 0xff, v40
	v_add_nc_u32_e32 v70, 0, v41
	v_add_f64 v[4:5], v[30:31], v[51:52]
	v_add_f64 v[18:19], v[30:31], -v[51:52]
	v_mul_lo_u16 v46, 0xcd, v20
	v_add_f64 v[2:3], v[16:17], v[32:33]
	v_add_f64 v[8:9], v[36:37], v[55:56]
	;; [unrolled: 1-line block ×3, first 2 shown]
	v_add_f64 v[12:13], v[16:17], -v[32:33]
	v_add_f64 v[14:15], v[36:37], -v[55:56]
	;; [unrolled: 1-line block ×3, first 2 shown]
	v_lshl_add_u32 v51, v69, 3, v70
	v_add_f64 v[20:21], v[59:60], v[57:58]
	v_add_f64 v[22:23], v[61:62], v[63:64]
	v_add_f64 v[26:27], v[57:58], -v[59:60]
	v_add_f64 v[28:29], v[67:68], v[47:48]
	v_add_f64 v[30:31], v[38:39], v[49:50]
	v_add_f64 v[32:33], v[61:62], -v[63:64]
	v_add_f64 v[34:35], v[67:68], -v[47:48]
	v_add_f64 v[24:25], v[65:66], v[44:45]
	v_add_f64 v[36:37], v[38:39], -v[49:50]
	v_add_f64 v[38:39], v[65:66], -v[44:45]
	v_mad_i32_i24 v72, 0xffffffb8, v40, v51
	ds_write_b128 v51, v[0:3]
	ds_write_b128 v51, v[8:11] offset:16
	ds_write_b128 v51, v[4:7] offset:32
	;; [unrolled: 1-line block ×4, first 2 shown]
	v_lshrrev_b16 v4, 11, v46
	v_lshl_add_u32 v73, v40, 3, v70
	v_add_nc_u32_e32 v74, 0x800, v72
	v_add_nc_u32_e32 v75, 0xc00, v72
	;; [unrolled: 1-line block ×3, first 2 shown]
	v_mul_lo_u16 v0, v4, 10
	s_waitcnt lgkmcnt(0)
	s_barrier
	buffer_gl0_inv
	ds_read2_b64 v[5:8], v72 offset0:90 offset1:180
	ds_read2_b64 v[9:12], v74 offset0:14 offset1:104
	;; [unrolled: 1-line block ×4, first 2 shown]
	v_sub_nc_u16 v96, v40, v0
	v_mov_b32_e32 v0, 9
	ds_read_b64 v[17:18], v73
	ds_read_b64 v[52:53], v72 offset:6480
	s_waitcnt lgkmcnt(0)
	s_barrier
	buffer_gl0_inv
	v_mul_u32_u24_sdwa v0, v96, v0 dst_sel:DWORD dst_unused:UNUSED_PAD src0_sel:BYTE_0 src1_sel:DWORD
	ds_write_b128 v51, v[20:23]
	ds_write_b128 v51, v[28:31] offset:16
	ds_write_b128 v51, v[24:27] offset:32
	;; [unrolled: 1-line block ×4, first 2 shown]
	s_waitcnt lgkmcnt(0)
	s_barrier
	v_lshlrev_b32_e32 v20, 4, v0
	buffer_gl0_inv
	s_clause 0x8
	global_load_dwordx4 v[0:3], v20, s[8:9] offset:128
	global_load_dwordx4 v[22:25], v20, s[8:9] offset:32
	;; [unrolled: 1-line block ×4, first 2 shown]
	global_load_dwordx4 v[34:37], v20, s[8:9]
	global_load_dwordx4 v[48:51], v20, s[8:9] offset:16
	global_load_dwordx4 v[54:57], v20, s[8:9] offset:48
	;; [unrolled: 1-line block ×4, first 2 shown]
	ds_read_b64 v[38:39], v72 offset:6480
	ds_read2_b64 v[66:69], v74 offset0:14 offset1:104
	ds_read_b64 v[20:21], v73
	ds_read2_b64 v[76:79], v75 offset0:66 offset1:156
	ds_read2_b64 v[80:83], v19 offset0:118 offset1:208
	;; [unrolled: 1-line block ×3, first 2 shown]
	v_and_b32_e32 v4, 0xffff, v4
	s_waitcnt vmcnt(0) lgkmcnt(0)
	s_barrier
	buffer_gl0_inv
	v_mad_u32_u24 v4, 0x320, v4, 0
	v_mul_f64 v[70:71], v[38:39], v[2:3]
	v_mul_f64 v[2:3], v[52:53], v[2:3]
	;; [unrolled: 1-line block ×4, first 2 shown]
	v_fma_f64 v[90:91], v[52:53], v[0:1], -v[70:71]
	v_fma_f64 v[0:1], v[38:39], v[0:1], v[2:3]
	v_mul_f64 v[2:3], v[76:77], v[28:29]
	v_mul_f64 v[28:29], v[13:14], v[28:29]
	;; [unrolled: 1-line block ×4, first 2 shown]
	v_fma_f64 v[9:10], v[9:10], v[22:23], -v[88:89]
	v_fma_f64 v[24:25], v[66:67], v[22:23], v[24:25]
	v_mul_f64 v[52:53], v[84:85], v[36:37]
	v_fma_f64 v[13:14], v[13:14], v[26:27], -v[2:3]
	v_fma_f64 v[22:23], v[76:77], v[26:27], v[28:29]
	v_mul_f64 v[26:27], v[5:6], v[36:37]
	v_mul_f64 v[28:29], v[86:87], v[50:51]
	v_fma_f64 v[2:3], v[80:81], v[30:31], v[32:33]
	v_mul_f64 v[32:33], v[68:69], v[56:57]
	v_fma_f64 v[36:37], v[44:45], v[30:31], -v[38:39]
	v_mul_f64 v[38:39], v[82:83], v[60:61]
	v_fma_f64 v[5:6], v[5:6], v[34:35], -v[52:53]
	v_mul_f64 v[50:51], v[7:8], v[50:51]
	v_add_f64 v[76:77], v[24:25], -v[22:23]
	v_fma_f64 v[26:27], v[84:85], v[34:35], v[26:27]
	v_mul_f64 v[34:35], v[78:79], v[64:65]
	v_fma_f64 v[30:31], v[7:8], v[48:49], -v[28:29]
	v_mul_f64 v[7:8], v[11:12], v[56:57]
	v_fma_f64 v[28:29], v[11:12], v[54:55], -v[32:33]
	v_add_f64 v[11:12], v[22:23], v[2:3]
	v_fma_f64 v[44:45], v[46:47], v[58:59], -v[38:39]
	v_add_f64 v[32:33], v[24:25], v[0:1]
	v_add_f64 v[38:39], v[9:10], v[90:91]
	v_mul_f64 v[56:57], v[46:47], v[60:61]
	v_add_f64 v[46:47], v[13:14], v[36:37]
	v_fma_f64 v[50:51], v[86:87], v[48:49], v[50:51]
	v_add_f64 v[48:49], v[9:10], -v[90:91]
	v_add_f64 v[60:61], v[13:14], -v[36:37]
	;; [unrolled: 1-line block ×4, first 2 shown]
	v_fma_f64 v[52:53], v[15:16], v[62:63], -v[34:35]
	v_mul_f64 v[15:16], v[15:16], v[64:65]
	v_add_f64 v[64:65], v[24:25], -v[0:1]
	v_fma_f64 v[54:55], v[68:69], v[54:55], v[7:8]
	v_fma_f64 v[11:12], v[11:12], -0.5, v[26:27]
	v_add_f64 v[7:8], v[30:31], v[44:45]
	v_fma_f64 v[32:33], v[32:33], -0.5, v[26:27]
	v_fma_f64 v[38:39], v[38:39], -0.5, v[5:6]
	v_fma_f64 v[34:35], v[82:83], v[58:59], v[56:57]
	v_fma_f64 v[70:71], v[46:47], -0.5, v[5:6]
	v_add_f64 v[56:57], v[9:10], -v[13:14]
	v_add_f64 v[58:59], v[90:91], -v[36:37]
	v_add_f64 v[5:6], v[5:6], v[9:10]
	v_add_f64 v[68:69], v[22:23], -v[24:25]
	v_add_f64 v[76:77], v[76:77], v[80:81]
	v_add_f64 v[82:83], v[28:29], v[52:53]
	v_fma_f64 v[46:47], v[78:79], v[62:63], v[15:16]
	v_add_f64 v[15:16], v[13:14], -v[9:10]
	v_add_f64 v[62:63], v[36:37], -v[90:91]
	v_fma_f64 v[9:10], v[48:49], s[4:5], v[11:12]
	v_add_f64 v[78:79], v[2:3], -v[0:1]
	v_fma_f64 v[84:85], v[60:61], s[6:7], v[32:33]
	v_fma_f64 v[86:87], v[66:67], s[6:7], v[38:39]
	;; [unrolled: 1-line block ×4, first 2 shown]
	v_fma_f64 v[7:8], v[7:8], -0.5, v[17:18]
	v_add_f64 v[92:93], v[56:57], v[58:59]
	v_add_f64 v[56:57], v[17:18], v[30:31]
	v_fma_f64 v[58:59], v[64:65], s[6:7], v[70:71]
	v_add_f64 v[70:71], v[50:51], -v[34:35]
	v_fma_f64 v[11:12], v[48:49], s[6:7], v[11:12]
	v_add_f64 v[5:6], v[5:6], v[13:14]
	v_add_f64 v[13:14], v[28:29], -v[30:31]
	v_fma_f64 v[80:81], v[82:83], -0.5, v[17:18]
	v_fma_f64 v[17:18], v[60:61], s[4:5], v[32:33]
	v_add_f64 v[32:33], v[54:55], -v[46:47]
	v_add_f64 v[15:16], v[15:16], v[62:63]
	v_fma_f64 v[9:10], v[60:61], s[10:11], v[9:10]
	v_add_f64 v[78:79], v[68:69], v[78:79]
	v_fma_f64 v[62:63], v[48:49], s[10:11], v[84:85]
	v_fma_f64 v[68:69], v[64:65], s[10:11], v[86:87]
	v_add_f64 v[84:85], v[30:31], -v[28:29]
	v_fma_f64 v[82:83], v[66:67], s[10:11], v[88:89]
	v_add_f64 v[86:87], v[44:45], -v[52:53]
	v_fma_f64 v[38:39], v[64:65], s[12:13], v[38:39]
	v_add_f64 v[94:95], v[56:57], v[28:29]
	v_fma_f64 v[66:67], v[66:67], s[12:13], v[58:59]
	v_add_f64 v[88:89], v[52:53], -v[44:45]
	v_fma_f64 v[11:12], v[60:61], s[12:13], v[11:12]
	v_add_f64 v[5:6], v[5:6], v[36:37]
	v_fma_f64 v[64:65], v[70:71], s[6:7], v[80:81]
	v_fma_f64 v[17:18], v[48:49], s[12:13], v[17:18]
	;; [unrolled: 1-line block ×9, first 2 shown]
	v_add_f64 v[9:10], v[84:85], v[86:87]
	v_fma_f64 v[68:69], v[15:16], s[14:15], v[38:39]
	v_add_f64 v[82:83], v[94:95], v[52:53]
	v_add_f64 v[13:14], v[13:14], v[88:89]
	;; [unrolled: 1-line block ×3, first 2 shown]
	v_fma_f64 v[36:37], v[32:33], s[12:13], v[64:65]
	v_fma_f64 v[64:65], v[76:77], s[14:15], v[11:12]
	;; [unrolled: 1-line block ×5, first 2 shown]
	v_mul_f64 v[11:12], v[60:61], s[12:13]
	v_fma_f64 v[66:67], v[78:79], s[14:15], v[17:18]
	v_mul_f64 v[15:16], v[62:63], s[6:7]
	v_mul_f64 v[17:18], v[58:59], s[14:15]
	v_fma_f64 v[32:33], v[32:33], s[10:11], v[80:81]
	v_mul_f64 v[38:39], v[56:57], s[16:17]
	v_add_f64 v[76:77], v[82:83], v[44:45]
	v_fma_f64 v[36:37], v[9:10], s[14:15], v[36:37]
	v_fma_f64 v[48:49], v[13:14], s[14:15], v[48:49]
	;; [unrolled: 1-line block ×5, first 2 shown]
	v_fma_f64 v[15:16], v[66:67], s[6:7], -v[17:18]
	v_fma_f64 v[9:10], v[9:10], s[14:15], v[32:33]
	v_fma_f64 v[17:18], v[64:65], s[12:13], -v[38:39]
	v_add_f64 v[38:39], v[76:77], v[5:6]
	v_add_f64 v[5:6], v[76:77], -v[5:6]
	v_add_nc_u32_e32 v77, 0x1400, v72
	v_add_f64 v[78:79], v[36:37], v[11:12]
	v_add_f64 v[11:12], v[36:37], -v[11:12]
	v_add_f64 v[80:81], v[48:49], v[13:14]
	v_add_f64 v[82:83], v[7:8], v[15:16]
	v_add_f64 v[13:14], v[48:49], -v[13:14]
	v_add_f64 v[84:85], v[9:10], v[17:18]
	v_add_f64 v[7:8], v[7:8], -v[15:16]
	v_add_f64 v[32:33], v[9:10], -v[17:18]
	v_mov_b32_e32 v9, 3
                                        ; implicit-def: $vgpr48_vgpr49
	v_lshlrev_b32_sdwa v9, v9, v96 dst_sel:DWORD dst_unused:UNUSED_PAD src0_sel:DWORD src1_sel:BYTE_0
	v_add3_u32 v76, v4, v9, v41
	ds_write2_b64 v76, v[38:39], v[78:79] offset1:10
	ds_write2_b64 v76, v[80:81], v[82:83] offset0:20 offset1:30
	ds_write2_b64 v76, v[84:85], v[5:6] offset0:40 offset1:50
	ds_write2_b64 v76, v[11:12], v[13:14] offset0:60 offset1:70
	ds_write2_b64 v76, v[7:8], v[32:33] offset0:80 offset1:90
	s_waitcnt lgkmcnt(0)
	s_barrier
	buffer_gl0_inv
	ds_read_b64 v[36:37], v73
	ds_read2_b64 v[16:19], v74 offset0:44 offset1:134
	ds_read2_b64 v[12:15], v75 offset0:96 offset1:216
	;; [unrolled: 1-line block ×4, first 2 shown]
                                        ; implicit-def: $vgpr38_vgpr39
	s_and_saveexec_b32 s1, s0
	s_cbranch_execz .LBB0_13
; %bb.12:
	ds_read_b64 v[32:33], v72 offset:2160
	ds_read_b64 v[48:49], v72 offset:4560
	;; [unrolled: 1-line block ×3, first 2 shown]
.LBB0_13:
	s_or_b32 exec_lo, exec_lo, s1
	v_add_f64 v[78:79], v[54:55], v[46:47]
	v_add_f64 v[80:81], v[50:51], v[34:35]
	;; [unrolled: 1-line block ×3, first 2 shown]
	v_add_f64 v[30:31], v[30:31], -v[44:45]
	v_add_f64 v[24:25], v[26:27], v[24:25]
	v_add_f64 v[26:27], v[28:29], -v[52:53]
	v_add_f64 v[44:45], v[50:51], -v[54:55]
	;; [unrolled: 1-line block ×4, first 2 shown]
	v_mul_f64 v[70:71], v[70:71], s[10:11]
	v_mul_f64 v[68:69], v[68:69], s[4:5]
	;; [unrolled: 1-line block ×4, first 2 shown]
	s_waitcnt lgkmcnt(0)
	s_barrier
	buffer_gl0_inv
	v_fma_f64 v[28:29], v[78:79], -0.5, v[20:21]
	v_fma_f64 v[20:21], v[80:81], -0.5, v[20:21]
	v_add_f64 v[54:55], v[82:83], v[54:55]
	v_add_f64 v[22:23], v[24:25], v[22:23]
	v_add_f64 v[24:25], v[46:47], -v[34:35]
	v_add_f64 v[44:45], v[44:45], v[52:53]
	v_fma_f64 v[52:53], v[58:59], s[4:5], -v[66:67]
	v_fma_f64 v[78:79], v[30:31], s[4:5], v[28:29]
	v_fma_f64 v[80:81], v[26:27], s[6:7], v[20:21]
	;; [unrolled: 1-line block ×4, first 2 shown]
	v_add_f64 v[46:47], v[54:55], v[46:47]
	v_add_f64 v[2:3], v[22:23], v[2:3]
	;; [unrolled: 1-line block ×3, first 2 shown]
	v_fma_f64 v[24:25], v[26:27], s[10:11], v[78:79]
	v_fma_f64 v[50:51], v[30:31], s[10:11], v[80:81]
	;; [unrolled: 1-line block ×5, first 2 shown]
	v_add_f64 v[34:35], v[46:47], v[34:35]
	v_add_f64 v[0:1], v[2:3], v[0:1]
	v_fma_f64 v[30:31], v[62:63], s[14:15], v[68:69]
	v_fma_f64 v[2:3], v[56:57], s[10:11], -v[64:65]
	v_fma_f64 v[24:25], v[44:45], s[14:15], v[24:25]
	v_fma_f64 v[46:47], v[22:23], s[14:15], v[50:51]
	;; [unrolled: 1-line block ×4, first 2 shown]
	v_add_f64 v[26:27], v[34:35], v[0:1]
	v_add_f64 v[0:1], v[34:35], -v[0:1]
	v_add_f64 v[34:35], v[24:25], v[28:29]
	v_add_f64 v[50:51], v[46:47], v[30:31]
	;; [unrolled: 1-line block ×4, first 2 shown]
	v_add_f64 v[24:25], v[24:25], -v[28:29]
	v_add_f64 v[28:29], v[46:47], -v[30:31]
	;; [unrolled: 1-line block ×4, first 2 shown]
                                        ; implicit-def: $vgpr52_vgpr53
	ds_write2_b64 v76, v[26:27], v[34:35] offset1:10
	ds_write2_b64 v76, v[50:51], v[54:55] offset0:20 offset1:30
	ds_write2_b64 v76, v[56:57], v[0:1] offset0:40 offset1:50
	;; [unrolled: 1-line block ×4, first 2 shown]
	s_waitcnt lgkmcnt(0)
	s_barrier
	buffer_gl0_inv
	ds_read_b64 v[46:47], v73
	ds_read2_b64 v[28:31], v74 offset0:44 offset1:134
	ds_read2_b64 v[24:27], v75 offset0:96 offset1:216
	;; [unrolled: 1-line block ×4, first 2 shown]
                                        ; implicit-def: $vgpr50_vgpr51
	s_and_saveexec_b32 s1, s0
	s_cbranch_execz .LBB0_15
; %bb.14:
	ds_read_b64 v[44:45], v72 offset:2160
	ds_read_b64 v[52:53], v72 offset:4560
	;; [unrolled: 1-line block ×3, first 2 shown]
.LBB0_15:
	s_or_b32 exec_lo, exec_lo, s1
	v_lshlrev_b32_e32 v54, 1, v40
	v_mov_b32_e32 v55, 0
	v_add_nc_u32_e32 v74, 0x5a, v40
	v_add_nc_u32_e32 v71, 0xb4, v40
	v_mov_b32_e32 v64, 0x147b
	v_add_nc_u32_e32 v70, 0x10e, v40
	v_lshlrev_b64 v[34:35], 4, v[54:55]
	v_add_nc_u32_e32 v54, -10, v40
	v_lshrrev_b16 v60, 2, v71
	s_mov_b32 s4, 0xe8584caa
	v_lshrrev_b16 v66, 2, v70
	s_mov_b32 s5, 0x3febb67a
	v_add_co_u32 v34, s1, s8, v34
	v_add_co_ci_u32_e64 v35, s1, s9, v35, s1
	v_cmp_gt_u32_e64 s1, 10, v40
	v_mul_u32_u24_sdwa v65, v60, v64 dst_sel:DWORD dst_unused:UNUSED_PAD src0_sel:WORD_0 src1_sel:DWORD
	v_mul_u32_u24_sdwa v64, v66, v64 dst_sel:DWORD dst_unused:UNUSED_PAD src0_sel:WORD_0 src1_sel:DWORD
	s_clause 0x1
	global_load_dwordx4 v[56:59], v[34:35], off offset:1440
	global_load_dwordx4 v[76:79], v[34:35], off offset:1456
	v_cndmask_b32_e64 v100, v54, v74, s1
	v_lshrrev_b32_e32 v101, 17, v65
	v_lshrrev_b32_e32 v64, 17, v64
	v_mov_b32_e32 v66, 5
	s_mov_b32 s7, 0xbfebb67a
	v_lshlrev_b32_e32 v54, 1, v100
	v_mul_lo_u16 v65, 0x64, v101
	v_mul_lo_u16 v64, 0x64, v64
	s_mov_b32 s6, s4
	v_lshlrev_b64 v[54:55], 4, v[54:55]
	v_sub_nc_u16 v102, v71, v65
	v_sub_nc_u16 v75, v70, v64
	v_lshlrev_b32_sdwa v65, v66, v102 dst_sel:DWORD dst_unused:UNUSED_PAD src0_sel:DWORD src1_sel:WORD_0
	v_add_co_u32 v54, s1, s8, v54
	v_add_co_ci_u32_e64 v55, s1, s9, v55, s1
	v_cmp_lt_u32_e64 s1, 9, v40
	s_clause 0x2
	global_load_dwordx4 v[60:63], v[54:55], off offset:1440
	global_load_dwordx4 v[80:83], v65, s[8:9] offset:1440
	global_load_dwordx4 v[84:87], v[54:55], off offset:1456
	v_lshlrev_b32_sdwa v54, v66, v75 dst_sel:DWORD dst_unused:UNUSED_PAD src0_sel:DWORD src1_sel:WORD_0
	s_clause 0x2
	global_load_dwordx4 v[88:91], v65, s[8:9] offset:1456
	global_load_dwordx4 v[92:95], v54, s[8:9] offset:1440
	;; [unrolled: 1-line block ×3, first 2 shown]
	s_waitcnt vmcnt(0) lgkmcnt(0)
	s_barrier
	buffer_gl0_inv
	v_mul_f64 v[54:55], v[28:29], v[58:59]
	v_mul_f64 v[58:59], v[16:17], v[58:59]
	v_fma_f64 v[54:55], v[16:17], v[56:57], -v[54:55]
	v_fma_f64 v[28:29], v[28:29], v[56:57], v[58:59]
	v_mul_f64 v[58:59], v[26:27], v[78:79]
	v_mul_f64 v[78:79], v[14:15], v[78:79]
	;; [unrolled: 1-line block ×7, first 2 shown]
	v_fma_f64 v[26:27], v[26:27], v[76:77], v[78:79]
	v_fma_f64 v[56:57], v[18:19], v[60:61], -v[64:65]
	v_mul_f64 v[18:19], v[24:25], v[82:83]
	v_fma_f64 v[30:31], v[30:31], v[60:61], v[16:17]
	v_mul_f64 v[16:17], v[22:23], v[90:91]
	v_fma_f64 v[64:65], v[14:15], v[76:77], -v[58:59]
	v_mul_f64 v[14:15], v[8:9], v[86:87]
	v_fma_f64 v[62:63], v[8:9], v[84:85], -v[62:63]
	;; [unrolled: 2-line block ×6, first 2 shown]
	v_fma_f64 v[20:21], v[20:21], v[84:85], v[14:15]
	v_fma_f64 v[22:23], v[22:23], v[88:89], v[8:9]
	v_add_f64 v[8:9], v[56:57], v[62:63]
	v_add_f64 v[18:19], v[28:29], -v[26:27]
	v_add_f64 v[38:39], v[4:5], v[56:57]
	v_fma_f64 v[24:25], v[24:25], v[80:81], v[12:13]
	v_add_f64 v[12:13], v[54:55], v[64:65]
	v_fma_f64 v[68:69], v[52:53], v[92:93], v[10:11]
	;; [unrolled: 2-line block ×3, first 2 shown]
	v_add_f64 v[14:15], v[48:49], v[66:67]
	v_add_f64 v[16:17], v[36:37], v[54:55]
	;; [unrolled: 1-line block ×4, first 2 shown]
	v_fma_f64 v[4:5], v[8:9], -0.5, v[4:5]
	v_add_f64 v[78:79], v[38:39], v[62:63]
	v_add_f64 v[8:9], v[24:25], -v[22:23]
	v_fma_f64 v[12:13], v[12:13], -0.5, v[36:37]
	v_add_f64 v[36:37], v[30:31], -v[20:21]
	v_fma_f64 v[6:7], v[10:11], -0.5, v[6:7]
	;; [unrolled: 2-line block ×3, first 2 shown]
	v_add_f64 v[16:17], v[16:17], v[64:65]
	v_add_f64 v[50:51], v[50:51], v[60:61]
	;; [unrolled: 1-line block ×3, first 2 shown]
	v_fma_f64 v[80:81], v[18:19], s[4:5], v[12:13]
	v_fma_f64 v[12:13], v[18:19], s[6:7], v[12:13]
	;; [unrolled: 1-line block ×8, first 2 shown]
	v_cndmask_b32_e64 v7, 0, 0x960, s1
	v_mov_b32_e32 v4, 3
	v_lshlrev_b32_e32 v8, 3, v100
	v_mad_u32_u24 v9, 0x960, v101, 0
	v_add_nc_u32_e32 v7, 0, v7
	v_lshlrev_b32_sdwa v10, v4, v102 dst_sel:DWORD dst_unused:UNUSED_PAD src0_sel:DWORD src1_sel:WORD_0
	v_add3_u32 v76, v7, v8, v41
	v_add3_u32 v77, v9, v10, v41
	ds_write2_b64 v72, v[16:17], v[80:81] offset1:100
	ds_write_b64 v72, v[12:13] offset:1600
	ds_write2_b64 v76, v[78:79], v[18:19] offset1:100
	ds_write_b64 v76, v[82:83] offset:1600
	;; [unrolled: 2-line block ×3, first 2 shown]
	s_and_saveexec_b32 s1, s0
	s_cbranch_execz .LBB0_17
; %bb.16:
	v_lshlrev_b32_sdwa v4, v4, v75 dst_sel:DWORD dst_unused:UNUSED_PAD src0_sel:DWORD src1_sel:WORD_0
	v_add3_u32 v4, 0, v4, v41
	v_add_nc_u32_e32 v5, 0x1000, v4
	ds_write2_b64 v5, v[32:33], v[36:37] offset0:88 offset1:188
	ds_write_b64 v4, v[38:39] offset:6400
.LBB0_17:
	s_or_b32 exec_lo, exec_lo, s1
	v_add_nc_u32_e32 v4, 0x800, v72
	v_add_nc_u32_e32 v5, 0xc00, v72
	;; [unrolled: 1-line block ×3, first 2 shown]
	s_waitcnt lgkmcnt(0)
	s_barrier
	buffer_gl0_inv
	ds_read_b64 v[50:51], v73
	ds_read2_b64 v[8:11], v4 offset0:44 offset1:134
	ds_read2_b64 v[16:19], v5 offset0:96 offset1:216
	;; [unrolled: 1-line block ×4, first 2 shown]
	s_and_saveexec_b32 s1, s0
	s_cbranch_execz .LBB0_19
; %bb.18:
	ds_read_b64 v[32:33], v72 offset:2160
	ds_read_b64 v[36:37], v72 offset:4560
	;; [unrolled: 1-line block ×3, first 2 shown]
.LBB0_19:
	s_or_b32 exec_lo, exec_lo, s1
	v_add_f64 v[78:79], v[28:29], v[26:27]
	v_add_f64 v[84:85], v[68:69], v[52:53]
	;; [unrolled: 1-line block ×5, first 2 shown]
	v_add_f64 v[54:55], v[54:55], -v[64:65]
	v_add_f64 v[24:25], v[2:3], v[24:25]
	v_add_f64 v[64:65], v[44:45], v[68:69]
	v_add_f64 v[58:59], v[58:59], -v[60:61]
	v_add_f64 v[48:49], v[48:49], -v[66:67]
	v_add_f64 v[30:31], v[0:1], v[30:31]
	v_add_f64 v[56:57], v[56:57], -v[62:63]
	s_mov_b32 s4, 0xe8584caa
	s_mov_b32 s5, 0xbfebb67a
	;; [unrolled: 1-line block ×4, first 2 shown]
	s_waitcnt lgkmcnt(0)
	s_barrier
	buffer_gl0_inv
	v_fma_f64 v[46:47], v[78:79], -0.5, v[46:47]
	v_fma_f64 v[60:61], v[84:85], -0.5, v[44:45]
	;; [unrolled: 1-line block ×4, first 2 shown]
	v_add_f64 v[26:27], v[28:29], v[26:27]
	v_add_f64 v[22:23], v[24:25], v[22:23]
	;; [unrolled: 1-line block ×4, first 2 shown]
	v_fma_f64 v[24:25], v[54:55], s[4:5], v[46:47]
	v_fma_f64 v[28:29], v[54:55], s[6:7], v[46:47]
	;; [unrolled: 1-line block ×8, first 2 shown]
	ds_write2_b64 v72, v[26:27], v[24:25] offset1:100
	ds_write_b64 v72, v[28:29] offset:1600
	ds_write2_b64 v76, v[20:21], v[30:31] offset1:100
	ds_write_b64 v76, v[0:1] offset:1600
	;; [unrolled: 2-line block ×3, first 2 shown]
	s_and_saveexec_b32 s1, s0
	s_cbranch_execz .LBB0_21
; %bb.20:
	v_mov_b32_e32 v0, 3
	v_lshlrev_b32_sdwa v0, v0, v75 dst_sel:DWORD dst_unused:UNUSED_PAD src0_sel:DWORD src1_sel:WORD_0
	v_add3_u32 v0, 0, v0, v41
	v_add_nc_u32_e32 v1, 0x1000, v0
	ds_write2_b64 v1, v[44:45], v[46:47] offset0:88 offset1:188
	ds_write_b64 v0, v[48:49] offset:6400
.LBB0_21:
	s_or_b32 exec_lo, exec_lo, s1
	v_add_nc_u32_e32 v0, 0x800, v72
	v_add_nc_u32_e32 v1, 0xc00, v72
	;; [unrolled: 1-line block ×3, first 2 shown]
	s_waitcnt lgkmcnt(0)
	s_barrier
	buffer_gl0_inv
	ds_read_b64 v[54:55], v73
	ds_read2_b64 v[20:23], v0 offset0:44 offset1:134
	ds_read2_b64 v[28:31], v1 offset0:96 offset1:216
	;; [unrolled: 1-line block ×4, first 2 shown]
	s_and_saveexec_b32 s1, s0
	s_cbranch_execz .LBB0_23
; %bb.22:
	ds_read_b64 v[44:45], v72 offset:2160
	ds_read_b64 v[46:47], v72 offset:4560
	;; [unrolled: 1-line block ×3, first 2 shown]
.LBB0_23:
	s_or_b32 exec_lo, exec_lo, s1
	s_and_saveexec_b32 s1, vcc_lo
	s_cbranch_execz .LBB0_26
; %bb.24:
	v_lshlrev_b32_e32 v52, 1, v71
	v_mov_b32_e32 v53, 0
	s_mov_b32 s4, 0xe8584caa
	s_mov_b32 s5, 0x3febb67a
	;; [unrolled: 1-line block ×4, first 2 shown]
	v_lshlrev_b64 v[56:57], 4, v[52:53]
	v_lshlrev_b32_e32 v52, 1, v74
	v_lshlrev_b64 v[64:65], 4, v[52:53]
	v_add_co_u32 v41, vcc_lo, s8, v56
	v_add_co_ci_u32_e32 v58, vcc_lo, s9, v57, vcc_lo
	v_add_co_u32 v56, vcc_lo, 0x1000, v41
	v_add_co_ci_u32_e32 v57, vcc_lo, 0, v58, vcc_lo
	;; [unrolled: 2-line block ×7, first 2 shown]
	s_clause 0x3
	global_load_dwordx4 v[56:59], v[56:57], off offset:544
	global_load_dwordx4 v[60:63], v[60:61], off offset:16
	;; [unrolled: 1-line block ×4, first 2 shown]
	v_add_co_u32 v34, vcc_lo, 0x1220, v41
	v_add_co_ci_u32_e32 v35, vcc_lo, 0, v52, vcc_lo
	s_clause 0x1
	global_load_dwordx4 v[76:79], v[76:77], off offset:544
	global_load_dwordx4 v[80:83], v[34:35], off offset:16
	v_mov_b32_e32 v41, v53
	v_mul_hi_u32 v52, 0x1b4e81b5, v71
	s_waitcnt vmcnt(5) lgkmcnt(2)
	v_mul_f64 v[84:85], v[28:29], v[58:59]
	s_waitcnt vmcnt(3)
	v_mul_f64 v[34:35], v[8:9], v[66:67]
	s_waitcnt vmcnt(2)
	v_mul_f64 v[68:69], v[18:19], v[74:75]
	v_mul_f64 v[66:67], v[20:21], v[66:67]
	;; [unrolled: 1-line block ×3, first 2 shown]
	s_waitcnt lgkmcnt(0)
	v_mul_f64 v[86:87], v[26:27], v[62:63]
	v_mul_f64 v[58:59], v[16:17], v[58:59]
	;; [unrolled: 1-line block ×3, first 2 shown]
	s_waitcnt vmcnt(1)
	v_mul_f64 v[88:89], v[22:23], v[78:79]
	v_mul_f64 v[78:79], v[10:11], v[78:79]
	s_waitcnt vmcnt(0)
	v_mul_f64 v[90:91], v[12:13], v[82:83]
	v_mul_f64 v[82:83], v[24:25], v[82:83]
	v_fma_f64 v[16:17], v[16:17], v[56:57], -v[84:85]
	v_fma_f64 v[20:21], v[20:21], v[64:65], v[34:35]
	v_fma_f64 v[30:31], v[30:31], v[72:73], v[68:69]
	v_fma_f64 v[34:35], v[8:9], v[64:65], -v[66:67]
	v_fma_f64 v[18:19], v[18:19], v[72:73], -v[74:75]
	;; [unrolled: 1-line block ×3, first 2 shown]
	v_fma_f64 v[14:15], v[28:29], v[56:57], v[58:59]
	v_fma_f64 v[26:27], v[26:27], v[60:61], v[62:63]
	v_fma_f64 v[28:29], v[10:11], v[76:77], -v[88:89]
	v_fma_f64 v[22:23], v[22:23], v[76:77], v[78:79]
	v_fma_f64 v[24:25], v[24:25], v[80:81], v[90:91]
	v_fma_f64 v[56:57], v[12:13], v[80:81], -v[82:83]
	v_lshlrev_b64 v[8:9], 4, v[40:41]
	v_add_co_u32 v89, vcc_lo, s2, v42
	v_lshrrev_b32_e32 v10, 5, v52
	v_add_co_ci_u32_e32 v43, vcc_lo, s3, v43, vcc_lo
	v_add_co_u32 v8, vcc_lo, v89, v8
	v_mad_u32_u24 v52, 0x258, v10, v71
	v_add_co_ci_u32_e32 v9, vcc_lo, v43, v9, vcc_lo
	v_add_f64 v[73:74], v[54:55], v[20:21]
	v_add_f64 v[12:13], v[20:21], v[30:31]
	v_add_f64 v[75:76], v[20:21], -v[30:31]
	v_add_f64 v[41:42], v[34:35], v[18:19]
	v_add_f64 v[60:61], v[16:17], v[64:65]
	v_add_f64 v[20:21], v[50:51], v[34:35]
	v_add_f64 v[58:59], v[14:15], v[26:27]
	v_add_f64 v[71:72], v[34:35], -v[18:19]
	v_add_f64 v[34:35], v[16:17], -v[64:65]
	v_add_f64 v[62:63], v[22:23], v[24:25]
	v_add_f64 v[68:69], v[28:29], v[56:57]
	;; [unrolled: 1-line block ×6, first 2 shown]
	v_add_f64 v[85:86], v[28:29], -v[56:57]
	v_add_f64 v[79:80], v[14:15], -v[26:27]
	v_add_co_u32 v10, vcc_lo, 0x1000, v8
	v_add_co_ci_u32_e32 v11, vcc_lo, 0, v9, vcc_lo
	v_lshlrev_b64 v[66:67], 4, v[52:53]
	v_fma_f64 v[54:55], v[12:13], -0.5, v[54:55]
	v_fma_f64 v[28:29], v[41:42], -0.5, v[50:51]
	v_add_f64 v[41:42], v[22:23], -v[24:25]
	v_fma_f64 v[6:7], v[60:61], -0.5, v[6:7]
	v_fma_f64 v[50:51], v[58:59], -0.5, v[2:3]
	v_add_f64 v[2:3], v[20:21], v[18:19]
	v_fma_f64 v[58:59], v[62:63], -0.5, v[0:1]
	v_fma_f64 v[68:69], v[68:69], -0.5, v[4:5]
	v_add_f64 v[4:5], v[73:74], v[30:31]
	v_add_f64 v[12:13], v[16:17], v[64:65]
	;; [unrolled: 1-line block ×5, first 2 shown]
	v_add_co_u32 v0, vcc_lo, 0x2000, v8
	v_add_co_ci_u32_e32 v1, vcc_lo, 0, v9, vcc_lo
	v_add_co_u32 v87, vcc_lo, 0x1800, v8
	v_add_co_ci_u32_e32 v88, vcc_lo, 0, v9, vcc_lo
	v_fma_f64 v[26:27], v[71:72], s[6:7], v[54:55]
	v_fma_f64 v[24:25], v[75:76], s[4:5], v[28:29]
	;; [unrolled: 1-line block ×12, first 2 shown]
	v_add_co_u32 v6, vcc_lo, v89, v66
	v_add_co_ci_u32_e32 v7, vcc_lo, v43, v67, vcc_lo
	v_add_co_u32 v34, vcc_lo, 0x2800, v8
	v_add_co_ci_u32_e32 v35, vcc_lo, 0, v9, vcc_lo
	;; [unrolled: 2-line block ×4, first 2 shown]
	global_store_dwordx4 v[8:9], v[2:5], off
	global_store_dwordx4 v[8:9], v[16:19], off offset:1440
	global_store_dwordx4 v[10:11], v[24:27], off offset:704
	;; [unrolled: 1-line block ×5, first 2 shown]
	global_store_dwordx4 v[6:7], v[12:15], off
	global_store_dwordx4 v[41:42], v[54:57], off offset:704
	global_store_dwordx4 v[50:51], v[28:31], off offset:1408
	s_and_b32 exec_lo, exec_lo, s0
	s_cbranch_execz .LBB0_26
; %bb.25:
	v_subrev_nc_u32_e32 v2, 30, v40
	v_cndmask_b32_e64 v2, v2, v70, s0
	v_lshlrev_b32_e32 v52, 1, v2
	v_lshlrev_b64 v[2:3], 4, v[52:53]
	v_add_co_u32 v4, vcc_lo, s8, v2
	v_add_co_ci_u32_e32 v5, vcc_lo, s9, v3, vcc_lo
	v_add_co_u32 v2, vcc_lo, 0x1000, v4
	v_add_co_ci_u32_e32 v3, vcc_lo, 0, v5, vcc_lo
	;; [unrolled: 2-line block ×3, first 2 shown]
	s_clause 0x1
	global_load_dwordx4 v[2:5], v[2:3], off offset:544
	global_load_dwordx4 v[12:15], v[6:7], off offset:16
	s_waitcnt vmcnt(1)
	v_mul_f64 v[6:7], v[46:47], v[4:5]
	s_waitcnt vmcnt(0)
	v_mul_f64 v[16:17], v[48:49], v[14:15]
	v_mul_f64 v[4:5], v[36:37], v[4:5]
	;; [unrolled: 1-line block ×3, first 2 shown]
	v_fma_f64 v[6:7], v[36:37], v[2:3], -v[6:7]
	v_fma_f64 v[16:17], v[38:39], v[12:13], -v[16:17]
	v_fma_f64 v[2:3], v[46:47], v[2:3], v[4:5]
	v_fma_f64 v[4:5], v[48:49], v[12:13], v[14:15]
	v_add_f64 v[18:19], v[32:33], v[6:7]
	v_add_f64 v[12:13], v[6:7], v[16:17]
	;; [unrolled: 1-line block ×4, first 2 shown]
	v_add_f64 v[20:21], v[2:3], -v[4:5]
	v_add_f64 v[6:7], v[6:7], -v[16:17]
	v_add_f64 v[2:3], v[18:19], v[16:17]
	v_fma_f64 v[24:25], v[12:13], -0.5, v[32:33]
	v_add_f64 v[4:5], v[22:23], v[4:5]
	v_fma_f64 v[26:27], v[14:15], -0.5, v[44:45]
	v_fma_f64 v[12:13], v[20:21], s[4:5], v[24:25]
	v_fma_f64 v[16:17], v[20:21], s[6:7], v[24:25]
	v_fma_f64 v[14:15], v[6:7], s[6:7], v[26:27]
	v_fma_f64 v[18:19], v[6:7], s[4:5], v[26:27]
	v_add_co_u32 v6, vcc_lo, 0x3000, v8
	v_add_co_ci_u32_e32 v7, vcc_lo, 0, v9, vcc_lo
	global_store_dwordx4 v[10:11], v[2:5], off offset:224
	global_store_dwordx4 v[0:1], v[12:15], off offset:928
	;; [unrolled: 1-line block ×3, first 2 shown]
.LBB0_26:
	s_endpgm
	.section	.rodata,"a",@progbits
	.p2align	6, 0x0
	.amdhsa_kernel fft_rtc_fwd_len900_factors_10_10_3_3_wgs_180_tpt_90_halfLds_dp_ip_CI_unitstride_sbrr_dirReg
		.amdhsa_group_segment_fixed_size 0
		.amdhsa_private_segment_fixed_size 0
		.amdhsa_kernarg_size 88
		.amdhsa_user_sgpr_count 6
		.amdhsa_user_sgpr_private_segment_buffer 1
		.amdhsa_user_sgpr_dispatch_ptr 0
		.amdhsa_user_sgpr_queue_ptr 0
		.amdhsa_user_sgpr_kernarg_segment_ptr 1
		.amdhsa_user_sgpr_dispatch_id 0
		.amdhsa_user_sgpr_flat_scratch_init 0
		.amdhsa_user_sgpr_private_segment_size 0
		.amdhsa_wavefront_size32 1
		.amdhsa_uses_dynamic_stack 0
		.amdhsa_system_sgpr_private_segment_wavefront_offset 0
		.amdhsa_system_sgpr_workgroup_id_x 1
		.amdhsa_system_sgpr_workgroup_id_y 0
		.amdhsa_system_sgpr_workgroup_id_z 0
		.amdhsa_system_sgpr_workgroup_info 0
		.amdhsa_system_vgpr_workitem_id 0
		.amdhsa_next_free_vgpr 103
		.amdhsa_next_free_sgpr 21
		.amdhsa_reserve_vcc 1
		.amdhsa_reserve_flat_scratch 0
		.amdhsa_float_round_mode_32 0
		.amdhsa_float_round_mode_16_64 0
		.amdhsa_float_denorm_mode_32 3
		.amdhsa_float_denorm_mode_16_64 3
		.amdhsa_dx10_clamp 1
		.amdhsa_ieee_mode 1
		.amdhsa_fp16_overflow 0
		.amdhsa_workgroup_processor_mode 1
		.amdhsa_memory_ordered 1
		.amdhsa_forward_progress 0
		.amdhsa_shared_vgpr_count 0
		.amdhsa_exception_fp_ieee_invalid_op 0
		.amdhsa_exception_fp_denorm_src 0
		.amdhsa_exception_fp_ieee_div_zero 0
		.amdhsa_exception_fp_ieee_overflow 0
		.amdhsa_exception_fp_ieee_underflow 0
		.amdhsa_exception_fp_ieee_inexact 0
		.amdhsa_exception_int_div_zero 0
	.end_amdhsa_kernel
	.text
.Lfunc_end0:
	.size	fft_rtc_fwd_len900_factors_10_10_3_3_wgs_180_tpt_90_halfLds_dp_ip_CI_unitstride_sbrr_dirReg, .Lfunc_end0-fft_rtc_fwd_len900_factors_10_10_3_3_wgs_180_tpt_90_halfLds_dp_ip_CI_unitstride_sbrr_dirReg
                                        ; -- End function
	.section	.AMDGPU.csdata,"",@progbits
; Kernel info:
; codeLenInByte = 7912
; NumSgprs: 23
; NumVgprs: 103
; ScratchSize: 0
; MemoryBound: 1
; FloatMode: 240
; IeeeMode: 1
; LDSByteSize: 0 bytes/workgroup (compile time only)
; SGPRBlocks: 2
; VGPRBlocks: 12
; NumSGPRsForWavesPerEU: 23
; NumVGPRsForWavesPerEU: 103
; Occupancy: 9
; WaveLimiterHint : 1
; COMPUTE_PGM_RSRC2:SCRATCH_EN: 0
; COMPUTE_PGM_RSRC2:USER_SGPR: 6
; COMPUTE_PGM_RSRC2:TRAP_HANDLER: 0
; COMPUTE_PGM_RSRC2:TGID_X_EN: 1
; COMPUTE_PGM_RSRC2:TGID_Y_EN: 0
; COMPUTE_PGM_RSRC2:TGID_Z_EN: 0
; COMPUTE_PGM_RSRC2:TIDIG_COMP_CNT: 0
	.text
	.p2alignl 6, 3214868480
	.fill 48, 4, 3214868480
	.type	__hip_cuid_915d4519d4c7d756,@object ; @__hip_cuid_915d4519d4c7d756
	.section	.bss,"aw",@nobits
	.globl	__hip_cuid_915d4519d4c7d756
__hip_cuid_915d4519d4c7d756:
	.byte	0                               ; 0x0
	.size	__hip_cuid_915d4519d4c7d756, 1

	.ident	"AMD clang version 19.0.0git (https://github.com/RadeonOpenCompute/llvm-project roc-6.4.0 25133 c7fe45cf4b819c5991fe208aaa96edf142730f1d)"
	.section	".note.GNU-stack","",@progbits
	.addrsig
	.addrsig_sym __hip_cuid_915d4519d4c7d756
	.amdgpu_metadata
---
amdhsa.kernels:
  - .args:
      - .actual_access:  read_only
        .address_space:  global
        .offset:         0
        .size:           8
        .value_kind:     global_buffer
      - .offset:         8
        .size:           8
        .value_kind:     by_value
      - .actual_access:  read_only
        .address_space:  global
        .offset:         16
        .size:           8
        .value_kind:     global_buffer
      - .actual_access:  read_only
        .address_space:  global
        .offset:         24
        .size:           8
        .value_kind:     global_buffer
      - .offset:         32
        .size:           8
        .value_kind:     by_value
      - .actual_access:  read_only
        .address_space:  global
        .offset:         40
        .size:           8
        .value_kind:     global_buffer
      - .actual_access:  read_only
        .address_space:  global
        .offset:         48
        .size:           8
        .value_kind:     global_buffer
      - .offset:         56
        .size:           4
        .value_kind:     by_value
      - .actual_access:  read_only
        .address_space:  global
        .offset:         64
        .size:           8
        .value_kind:     global_buffer
      - .actual_access:  read_only
        .address_space:  global
        .offset:         72
        .size:           8
        .value_kind:     global_buffer
      - .address_space:  global
        .offset:         80
        .size:           8
        .value_kind:     global_buffer
    .group_segment_fixed_size: 0
    .kernarg_segment_align: 8
    .kernarg_segment_size: 88
    .language:       OpenCL C
    .language_version:
      - 2
      - 0
    .max_flat_workgroup_size: 180
    .name:           fft_rtc_fwd_len900_factors_10_10_3_3_wgs_180_tpt_90_halfLds_dp_ip_CI_unitstride_sbrr_dirReg
    .private_segment_fixed_size: 0
    .sgpr_count:     23
    .sgpr_spill_count: 0
    .symbol:         fft_rtc_fwd_len900_factors_10_10_3_3_wgs_180_tpt_90_halfLds_dp_ip_CI_unitstride_sbrr_dirReg.kd
    .uniform_work_group_size: 1
    .uses_dynamic_stack: false
    .vgpr_count:     103
    .vgpr_spill_count: 0
    .wavefront_size: 32
    .workgroup_processor_mode: 1
amdhsa.target:   amdgcn-amd-amdhsa--gfx1030
amdhsa.version:
  - 1
  - 2
...

	.end_amdgpu_metadata
